;; amdgpu-corpus repo=ROCm/rocFFT kind=compiled arch=gfx1201 opt=O3
	.text
	.amdgcn_target "amdgcn-amd-amdhsa--gfx1201"
	.amdhsa_code_object_version 6
	.protected	bluestein_single_back_len105_dim1_dp_op_CI_CI ; -- Begin function bluestein_single_back_len105_dim1_dp_op_CI_CI
	.globl	bluestein_single_back_len105_dim1_dp_op_CI_CI
	.p2align	8
	.type	bluestein_single_back_len105_dim1_dp_op_CI_CI,@function
bluestein_single_back_len105_dim1_dp_op_CI_CI: ; @bluestein_single_back_len105_dim1_dp_op_CI_CI
; %bb.0:
	s_load_b128 s[4:7], s[0:1], 0x28
	v_mul_u32_u24_e32 v1, 0xc31, v0
	s_mov_b32 s2, exec_lo
	s_delay_alu instid0(VALU_DEP_1) | instskip(NEXT) | instid1(VALU_DEP_1)
	v_lshrrev_b32_e32 v1, 16, v1
	v_mad_co_u64_u32 v[60:61], null, ttmp9, 12, v[1:2]
	v_mov_b32_e32 v61, 0
	s_wait_kmcnt 0x0
	s_delay_alu instid0(VALU_DEP_1)
	v_cmpx_gt_u64_e64 s[4:5], v[60:61]
	s_cbranch_execz .LBB0_23
; %bb.1:
	v_mul_hi_u32 v2, 0xaaaaaaab, v60
	v_mul_lo_u16 v1, v1, 21
	s_clause 0x1
	s_load_b64 s[14:15], s[0:1], 0x0
	s_load_b64 s[12:13], s[0:1], 0x38
	s_delay_alu instid0(VALU_DEP_1) | instskip(NEXT) | instid1(VALU_DEP_3)
	v_sub_nc_u16 v0, v0, v1
	v_lshrrev_b32_e32 v2, 3, v2
	s_delay_alu instid0(VALU_DEP_2) | instskip(SKIP_1) | instid1(VALU_DEP_3)
	v_and_b32_e32 v81, 0xffff, v0
	v_cmp_gt_u16_e32 vcc_lo, 15, v0
	v_mul_lo_u32 v2, v2, 12
	s_delay_alu instid0(VALU_DEP_3) | instskip(NEXT) | instid1(VALU_DEP_2)
	v_lshlrev_b32_e32 v82, 4, v81
	v_sub_nc_u32_e32 v1, v60, v2
	s_delay_alu instid0(VALU_DEP_1) | instskip(NEXT) | instid1(VALU_DEP_1)
	v_mul_u32_u24_e32 v44, 0x69, v1
	v_lshlrev_b32_e32 v83, 4, v44
	s_and_saveexec_b32 s3, vcc_lo
	s_cbranch_execz .LBB0_3
; %bb.2:
	s_load_b64 s[4:5], s[0:1], 0x18
	s_wait_kmcnt 0x0
	s_load_b128 s[8:11], s[4:5], 0x0
	s_wait_kmcnt 0x0
	v_mad_co_u64_u32 v[0:1], null, s10, v60, 0
	v_mad_co_u64_u32 v[2:3], null, s8, v81, 0
	s_mul_u64 s[4:5], s[8:9], 0xf0
	s_delay_alu instid0(VALU_DEP_1) | instskip(NEXT) | instid1(VALU_DEP_1)
	v_mad_co_u64_u32 v[4:5], null, s11, v60, v[1:2]
	v_mad_co_u64_u32 v[5:6], null, s9, v81, v[3:4]
	v_mov_b32_e32 v1, v4
	s_delay_alu instid0(VALU_DEP_1) | instskip(NEXT) | instid1(VALU_DEP_3)
	v_lshlrev_b64_e32 v[0:1], 4, v[0:1]
	v_mov_b32_e32 v3, v5
	s_delay_alu instid0(VALU_DEP_2) | instskip(NEXT) | instid1(VALU_DEP_2)
	v_add_co_u32 v0, s2, s6, v0
	v_lshlrev_b64_e32 v[2:3], 4, v[2:3]
	s_delay_alu instid0(VALU_DEP_4) | instskip(NEXT) | instid1(VALU_DEP_2)
	v_add_co_ci_u32_e64 v1, s2, s7, v1, s2
	v_add_co_u32 v16, s2, v0, v2
	s_wait_alu 0xf1ff
	s_delay_alu instid0(VALU_DEP_2)
	v_add_co_ci_u32_e64 v17, s2, v1, v3, s2
	s_clause 0x1
	global_load_b128 v[0:3], v82, s[14:15]
	global_load_b128 v[4:7], v82, s[14:15] offset:240
	s_wait_alu 0xfffe
	v_add_co_u32 v20, s2, v16, s4
	s_wait_alu 0xf1ff
	v_add_co_ci_u32_e64 v21, s2, s5, v17, s2
	s_clause 0x1
	global_load_b128 v[8:11], v82, s[14:15] offset:480
	global_load_b128 v[12:15], v82, s[14:15] offset:720
	v_add_co_u32 v24, s2, v20, s4
	s_wait_alu 0xf1ff
	v_add_co_ci_u32_e64 v25, s2, s5, v21, s2
	s_clause 0x1
	global_load_b128 v[16:19], v[16:17], off
	global_load_b128 v[20:23], v[20:21], off
	v_add_co_u32 v28, s2, v24, s4
	s_wait_alu 0xf1ff
	v_add_co_ci_u32_e64 v29, s2, s5, v25, s2
	s_delay_alu instid0(VALU_DEP_2) | instskip(SKIP_1) | instid1(VALU_DEP_2)
	v_add_co_u32 v32, s2, v28, s4
	s_wait_alu 0xf1ff
	v_add_co_ci_u32_e64 v33, s2, s5, v29, s2
	s_clause 0x1
	global_load_b128 v[24:27], v[24:25], off
	global_load_b128 v[28:31], v[28:29], off
	v_add_co_u32 v45, s2, v32, s4
	s_wait_alu 0xf1ff
	v_add_co_ci_u32_e64 v46, s2, s5, v33, s2
	global_load_b128 v[32:35], v[32:33], off
	v_add_co_u32 v53, s2, v45, s4
	s_wait_alu 0xf1ff
	v_add_co_ci_u32_e64 v54, s2, s5, v46, s2
	s_clause 0x1
	global_load_b128 v[36:39], v82, s[14:15] offset:960
	global_load_b128 v[40:43], v82, s[14:15] offset:1200
	global_load_b128 v[45:48], v[45:46], off
	global_load_b128 v[49:52], v82, s[14:15] offset:1440
	global_load_b128 v[53:56], v[53:54], off
	s_wait_loadcnt 0x9
	v_mul_f64_e32 v[57:58], v[18:19], v[2:3]
	v_mul_f64_e32 v[2:3], v[16:17], v[2:3]
	s_wait_loadcnt 0x8
	v_mul_f64_e32 v[61:62], v[22:23], v[6:7]
	v_mul_f64_e32 v[6:7], v[20:21], v[6:7]
	;; [unrolled: 3-line block ×7, first 2 shown]
	v_fma_f64 v[14:15], v[16:17], v[0:1], v[57:58]
	v_fma_f64 v[16:17], v[18:19], v[0:1], -v[2:3]
	v_fma_f64 v[0:1], v[20:21], v[4:5], v[61:62]
	v_fma_f64 v[2:3], v[22:23], v[4:5], -v[6:7]
	;; [unrolled: 2-line block ×4, first 2 shown]
	v_lshl_add_u32 v12, v81, 4, v83
	v_add_nc_u32_e32 v13, v83, v82
	v_fma_f64 v[18:19], v[32:33], v[36:37], v[69:70]
	v_fma_f64 v[20:21], v[34:35], v[36:37], -v[38:39]
	v_fma_f64 v[22:23], v[45:46], v[40:41], v[71:72]
	v_fma_f64 v[24:25], v[47:48], v[40:41], -v[42:43]
	;; [unrolled: 2-line block ×3, first 2 shown]
	ds_store_b128 v12, v[14:17]
	ds_store_b128 v13, v[0:3] offset:240
	ds_store_b128 v13, v[4:7] offset:480
	;; [unrolled: 1-line block ×6, first 2 shown]
.LBB0_3:
	s_or_b32 exec_lo, exec_lo, s3
	global_wb scope:SCOPE_SE
	s_wait_dscnt 0x0
	s_wait_kmcnt 0x0
	s_barrier_signal -1
	s_barrier_wait -1
	global_inv scope:SCOPE_SE
                                        ; implicit-def: $vgpr0_vgpr1
                                        ; implicit-def: $vgpr4_vgpr5
                                        ; implicit-def: $vgpr8_vgpr9
                                        ; implicit-def: $vgpr12_vgpr13
                                        ; implicit-def: $vgpr16_vgpr17
                                        ; implicit-def: $vgpr20_vgpr21
                                        ; implicit-def: $vgpr24_vgpr25
	s_and_saveexec_b32 s2, vcc_lo
	s_cbranch_execz .LBB0_5
; %bb.4:
	v_lshl_add_u32 v24, v44, 4, v82
	ds_load_b128 v[0:3], v24
	ds_load_b128 v[4:7], v24 offset:240
	ds_load_b128 v[8:11], v24 offset:480
	ds_load_b128 v[12:15], v24 offset:720
	ds_load_b128 v[16:19], v24 offset:960
	ds_load_b128 v[20:23], v24 offset:1200
	ds_load_b128 v[24:27], v24 offset:1440
.LBB0_5:
	s_wait_alu 0xfffe
	s_or_b32 exec_lo, exec_lo, s2
	s_wait_dscnt 0x0
	v_add_f64_e32 v[28:29], v[4:5], v[24:25]
	v_add_f64_e32 v[30:31], v[6:7], v[26:27]
	;; [unrolled: 1-line block ×4, first 2 shown]
	v_add_f64_e64 v[8:9], v[8:9], -v[20:21]
	v_add_f64_e64 v[10:11], v[10:11], -v[22:23]
	v_add_f64_e32 v[20:21], v[12:13], v[16:17]
	v_add_f64_e32 v[22:23], v[14:15], v[18:19]
	v_add_f64_e64 v[12:13], v[16:17], -v[12:13]
	v_add_f64_e64 v[14:15], v[18:19], -v[14:15]
	;; [unrolled: 1-line block ×4, first 2 shown]
	s_mov_b32 s4, 0xe976ee23
	s_mov_b32 s2, 0x36b3c0b5
	;; [unrolled: 1-line block ×10, first 2 shown]
	v_mul_lo_u16 v87, v81, 7
	v_add_f64_e32 v[16:17], v[32:33], v[28:29]
	v_add_f64_e32 v[18:19], v[34:35], v[30:31]
	v_add_f64_e64 v[24:25], v[20:21], -v[32:33]
	v_add_f64_e64 v[26:27], v[22:23], -v[34:35]
	;; [unrolled: 1-line block ×6, first 2 shown]
	v_add_f64_e32 v[8:9], v[12:13], v[8:9]
	v_add_f64_e32 v[10:11], v[14:15], v[10:11]
	v_add_f64_e64 v[12:13], v[4:5], -v[12:13]
	v_add_f64_e64 v[14:15], v[6:7], -v[14:15]
	v_add_f64_e32 v[16:17], v[20:21], v[16:17]
	v_add_f64_e32 v[18:19], v[22:23], v[18:19]
	v_add_f64_e64 v[20:21], v[28:29], -v[20:21]
	v_add_f64_e64 v[22:23], v[30:31], -v[22:23]
	;; [unrolled: 1-line block ×4, first 2 shown]
	s_wait_alu 0xfffe
	v_mul_f64_e32 v[36:37], s[4:5], v[36:37]
	v_mul_f64_e32 v[38:39], s[4:5], v[38:39]
	s_mov_b32 s4, 0x37e14327
	v_mul_f64_e32 v[32:33], s[2:3], v[24:25]
	v_mul_f64_e32 v[34:35], s[2:3], v[26:27]
	s_mov_b32 s5, 0x3fe948f6
	v_mul_f64_e32 v[45:46], s[6:7], v[40:41]
	v_mul_f64_e32 v[47:48], s[6:7], v[42:43]
	v_add_f64_e32 v[8:9], v[8:9], v[4:5]
	v_add_f64_e32 v[10:11], v[10:11], v[6:7]
	;; [unrolled: 1-line block ×4, first 2 shown]
	s_wait_alu 0xfffe
	v_mul_f64_e32 v[20:21], s[4:5], v[20:21]
	v_mul_f64_e32 v[22:23], s[4:5], v[22:23]
	s_mov_b32 s4, 0xaaaaaaaa
	s_mov_b32 s5, 0xbff2aaaa
	v_fma_f64 v[4:5], v[12:13], s[10:11], v[36:37]
	v_fma_f64 v[49:50], v[14:15], s[10:11], v[38:39]
	s_mov_b32 s11, 0xbfd5d0dc
	v_fma_f64 v[32:33], v[28:29], s[8:9], -v[32:33]
	v_fma_f64 v[34:35], v[30:31], s[8:9], -v[34:35]
	s_mov_b32 s9, 0xbfe77f67
	v_fma_f64 v[36:37], v[40:41], s[6:7], -v[36:37]
	v_fma_f64 v[38:39], v[42:43], s[6:7], -v[38:39]
	s_wait_alu 0xfffe
	v_fma_f64 v[12:13], v[12:13], s[10:11], -v[45:46]
	v_fma_f64 v[14:15], v[14:15], s[10:11], -v[47:48]
	v_fma_f64 v[16:17], v[16:17], s[4:5], v[0:1]
	v_fma_f64 v[18:19], v[18:19], s[4:5], v[2:3]
	v_fma_f64 v[40:41], v[28:29], s[8:9], -v[20:21]
	v_fma_f64 v[30:31], v[30:31], s[8:9], -v[22:23]
	v_fma_f64 v[20:21], v[24:25], s[2:3], v[20:21]
	v_fma_f64 v[22:23], v[26:27], s[2:3], v[22:23]
	s_mov_b32 s2, 0x37c3f68c
	s_mov_b32 s3, 0x3fdc38aa
	s_wait_alu 0xfffe
	v_fma_f64 v[6:7], v[8:9], s[2:3], v[4:5]
	v_fma_f64 v[4:5], v[10:11], s[2:3], v[49:50]
	;; [unrolled: 1-line block ×6, first 2 shown]
	s_clause 0x1
	s_load_b64 s[4:5], s[0:1], 0x20
	s_load_b64 s[2:3], s[0:1], 0x8
	global_wb scope:SCOPE_SE
	s_wait_kmcnt 0x0
	s_barrier_signal -1
	s_barrier_wait -1
	global_inv scope:SCOPE_SE
	v_add_f64_e32 v[32:33], v[32:33], v[16:17]
	v_add_f64_e32 v[34:35], v[34:35], v[18:19]
	v_add_f64_e32 v[10:11], v[40:41], v[16:17]
	v_add_f64_e32 v[30:31], v[30:31], v[18:19]
	v_add_f64_e32 v[12:13], v[20:21], v[16:17]
	v_add_f64_e32 v[14:15], v[22:23], v[18:19]
	v_add_f64_e64 v[16:17], v[32:33], -v[26:27]
	v_add_f64_e32 v[18:19], v[24:25], v[34:35]
	v_add_f64_e32 v[20:21], v[32:33], v[26:27]
	v_add_f64_e64 v[22:23], v[34:35], -v[24:25]
	v_add_f64_e64 v[24:25], v[10:11], -v[8:9]
	v_add_f64_e32 v[26:27], v[28:29], v[30:31]
	v_add_f64_e64 v[32:33], v[12:13], -v[4:5]
	v_add_f64_e32 v[34:35], v[6:7], v[14:15]
	s_and_saveexec_b32 s0, vcc_lo
	s_cbranch_execz .LBB0_7
; %bb.6:
	v_add_f64_e64 v[6:7], v[14:15], -v[6:7]
	v_add_f64_e32 v[4:5], v[12:13], v[4:5]
	v_add_f64_e64 v[30:31], v[30:31], -v[28:29]
	v_add_f64_e32 v[28:29], v[10:11], v[8:9]
	v_and_b32_e32 v8, 0xffff, v87
	s_delay_alu instid0(VALU_DEP_1)
	v_add_lshl_u32 v8, v44, v8, 4
	ds_store_b128 v8, v[20:23] offset:64
	ds_store_b128 v8, v[24:27] offset:80
	ds_store_b128 v8, v[0:3]
	ds_store_b128 v8, v[4:7] offset:16
	ds_store_b128 v8, v[28:31] offset:32
	;; [unrolled: 1-line block ×4, first 2 shown]
.LBB0_7:
	s_wait_alu 0xfffe
	s_or_b32 exec_lo, exec_lo, s0
	v_add_lshl_u32 v84, v44, v81, 4
	global_wb scope:SCOPE_SE
	s_wait_dscnt 0x0
	s_barrier_signal -1
	s_barrier_wait -1
	global_inv scope:SCOPE_SE
	ds_load_b128 v[28:31], v84
	ds_load_b128 v[40:43], v84 offset:560
	ds_load_b128 v[36:39], v84 offset:1120
	v_cmp_gt_u16_e64 s0, 14, v81
	s_delay_alu instid0(VALU_DEP_1)
	s_and_saveexec_b32 s1, s0
	s_cbranch_execz .LBB0_9
; %bb.8:
	ds_load_b128 v[16:19], v84 offset:336
	ds_load_b128 v[20:23], v84 offset:896
	;; [unrolled: 1-line block ×3, first 2 shown]
.LBB0_9:
	s_wait_alu 0xfffe
	s_or_b32 exec_lo, exec_lo, s1
	v_and_b32_e32 v0, 0xff, v81
	v_add_nc_u16 v1, v81, 21
	s_mov_b32 s8, 0xe8584caa
	s_mov_b32 s9, 0x3febb67a
	;; [unrolled: 1-line block ×3, first 2 shown]
	v_mul_lo_u16 v0, v0, 37
	v_and_b32_e32 v2, 0xff, v1
	s_wait_alu 0xfffe
	s_mov_b32 s6, s8
	s_delay_alu instid0(VALU_DEP_2) | instskip(NEXT) | instid1(VALU_DEP_2)
	v_lshrrev_b16 v0, 8, v0
	v_mul_lo_u16 v2, v2, 37
	s_delay_alu instid0(VALU_DEP_2) | instskip(NEXT) | instid1(VALU_DEP_2)
	v_sub_nc_u16 v3, v81, v0
	v_lshrrev_b16 v2, 8, v2
	s_delay_alu instid0(VALU_DEP_2) | instskip(NEXT) | instid1(VALU_DEP_2)
	v_lshrrev_b16 v3, 1, v3
	v_sub_nc_u16 v4, v1, v2
	s_delay_alu instid0(VALU_DEP_2) | instskip(NEXT) | instid1(VALU_DEP_2)
	v_and_b32_e32 v3, 0x7f, v3
	v_lshrrev_b16 v4, 1, v4
	s_delay_alu instid0(VALU_DEP_2) | instskip(NEXT) | instid1(VALU_DEP_2)
	v_add_nc_u16 v0, v3, v0
	v_and_b32_e32 v3, 0x7f, v4
	s_delay_alu instid0(VALU_DEP_2) | instskip(NEXT) | instid1(VALU_DEP_2)
	v_lshrrev_b16 v59, 2, v0
	v_add_nc_u16 v0, v3, v2
	s_delay_alu instid0(VALU_DEP_2) | instskip(NEXT) | instid1(VALU_DEP_2)
	v_mul_lo_u16 v2, v59, 7
	v_lshrrev_b16 v67, 2, v0
	s_delay_alu instid0(VALU_DEP_2) | instskip(NEXT) | instid1(VALU_DEP_2)
	v_sub_nc_u16 v68, v81, v2
	v_mul_lo_u16 v0, v67, 7
	v_and_b32_e32 v88, 0xffff, v67
	s_delay_alu instid0(VALU_DEP_3) | instskip(NEXT) | instid1(VALU_DEP_3)
	v_lshlrev_b16 v2, 1, v68
	v_sub_nc_u16 v0, v1, v0
	s_delay_alu instid0(VALU_DEP_2) | instskip(NEXT) | instid1(VALU_DEP_2)
	v_and_b32_e32 v1, 0xfe, v2
	v_and_b32_e32 v86, 0xff, v0
	s_delay_alu instid0(VALU_DEP_2) | instskip(NEXT) | instid1(VALU_DEP_2)
	v_lshlrev_b32_e32 v0, 4, v1
	v_lshlrev_b32_e32 v1, 5, v86
	s_clause 0x3
	global_load_b128 v[12:15], v0, s[2:3]
	global_load_b128 v[8:11], v0, s[2:3] offset:16
	global_load_b128 v[4:7], v1, s[2:3]
	global_load_b128 v[0:3], v1, s[2:3] offset:16
	s_wait_loadcnt_dscnt 0x301
	v_mul_f64_e32 v[45:46], v[42:43], v[14:15]
	v_mul_f64_e32 v[47:48], v[40:41], v[14:15]
	s_wait_loadcnt_dscnt 0x200
	v_mul_f64_e32 v[49:50], v[38:39], v[10:11]
	v_mul_f64_e32 v[51:52], v[36:37], v[10:11]
	s_wait_loadcnt 0x1
	v_mul_f64_e32 v[53:54], v[22:23], v[6:7]
	v_mul_f64_e32 v[55:56], v[20:21], v[6:7]
	s_wait_loadcnt 0x0
	v_mul_f64_e32 v[57:58], v[26:27], v[2:3]
	v_mul_f64_e32 v[61:62], v[24:25], v[2:3]
	v_fma_f64 v[45:46], v[40:41], v[12:13], -v[45:46]
	v_fma_f64 v[47:48], v[42:43], v[12:13], v[47:48]
	v_fma_f64 v[36:37], v[36:37], v[8:9], -v[49:50]
	v_fma_f64 v[38:39], v[38:39], v[8:9], v[51:52]
	;; [unrolled: 2-line block ×4, first 2 shown]
	v_add_f64_e32 v[55:56], v[28:29], v[45:46]
	v_add_f64_e32 v[24:25], v[45:46], v[36:37]
	;; [unrolled: 1-line block ×3, first 2 shown]
	v_add_f64_e64 v[57:58], v[47:48], -v[38:39]
	v_add_f64_e32 v[47:48], v[30:31], v[47:48]
	v_add_f64_e32 v[51:52], v[40:41], v[20:21]
	;; [unrolled: 1-line block ×3, first 2 shown]
	v_add_f64_e64 v[26:27], v[42:43], -v[22:23]
	v_add_f64_e64 v[61:62], v[45:46], -v[36:37]
	v_add_f64_e32 v[45:46], v[55:56], v[36:37]
	v_fma_f64 v[63:64], v[24:25], -0.5, v[28:29]
	v_fma_f64 v[65:66], v[49:50], -0.5, v[30:31]
	v_add_f64_e64 v[30:31], v[40:41], -v[20:21]
	v_add_f64_e32 v[47:48], v[47:48], v[38:39]
	v_fma_f64 v[24:25], v[51:52], -0.5, v[16:17]
	v_fma_f64 v[28:29], v[53:54], -0.5, v[18:19]
	v_fma_f64 v[49:50], v[57:58], s[8:9], v[63:64]
	s_wait_alu 0xfffe
	v_fma_f64 v[51:52], v[61:62], s[6:7], v[65:66]
	v_fma_f64 v[53:54], v[57:58], s[6:7], v[63:64]
	;; [unrolled: 1-line block ×5, first 2 shown]
	s_load_b128 s[4:7], s[4:5], 0x0
	v_mad_u16 v57, v59, 21, v68
	global_wb scope:SCOPE_SE
	s_wait_kmcnt 0x0
	s_barrier_signal -1
	s_barrier_wait -1
	global_inv scope:SCOPE_SE
	v_and_b32_e32 v57, 0xff, v57
	s_delay_alu instid0(VALU_DEP_1)
	v_add_lshl_u32 v89, v44, v57, 4
	ds_store_b128 v89, v[45:48]
	ds_store_b128 v89, v[49:52] offset:112
	ds_store_b128 v89, v[53:56] offset:224
	s_and_saveexec_b32 s1, s0
	s_cbranch_execz .LBB0_11
; %bb.10:
	v_add_f64_e32 v[42:43], v[18:19], v[42:43]
	v_add_f64_e32 v[16:17], v[16:17], v[40:41]
	v_mul_f64_e32 v[30:31], s[8:9], v[30:31]
	v_mul_f64_e32 v[26:27], s[8:9], v[26:27]
	s_delay_alu instid0(VALU_DEP_4) | instskip(NEXT) | instid1(VALU_DEP_4)
	v_add_f64_e32 v[22:23], v[42:43], v[22:23]
	v_add_f64_e32 v[20:21], v[16:17], v[20:21]
	s_delay_alu instid0(VALU_DEP_4) | instskip(NEXT) | instid1(VALU_DEP_4)
	v_add_f64_e64 v[18:19], v[28:29], -v[30:31]
	v_add_f64_e32 v[16:17], v[26:27], v[24:25]
	v_mul_u32_u24_e32 v24, 21, v88
	s_delay_alu instid0(VALU_DEP_1) | instskip(NEXT) | instid1(VALU_DEP_1)
	v_add_nc_u32_e32 v24, v24, v86
	v_add_lshl_u32 v24, v44, v24, 4
	ds_store_b128 v24, v[20:23]
	ds_store_b128 v24, v[16:19] offset:112
	ds_store_b128 v24, v[36:39] offset:224
.LBB0_11:
	s_wait_alu 0xfffe
	s_or_b32 exec_lo, exec_lo, s1
	v_lshlrev_b32_e32 v16, 6, v81
	global_wb scope:SCOPE_SE
	s_wait_dscnt 0x0
	s_barrier_signal -1
	s_barrier_wait -1
	global_inv scope:SCOPE_SE
	s_clause 0x3
	global_load_b128 v[28:31], v16, s[2:3] offset:224
	global_load_b128 v[24:27], v16, s[2:3] offset:240
	;; [unrolled: 1-line block ×4, first 2 shown]
	ds_load_b128 v[40:43], v84 offset:336
	ds_load_b128 v[44:47], v84 offset:672
	;; [unrolled: 1-line block ×4, first 2 shown]
	s_mov_b32 s2, 0x134454ff
	s_mov_b32 s3, 0x3fee6f0e
	;; [unrolled: 1-line block ×3, first 2 shown]
	s_wait_alu 0xfffe
	s_mov_b32 s8, s2
	v_lshl_add_u32 v85, v81, 4, v83
	s_wait_loadcnt_dscnt 0x303
	v_mul_f64_e32 v[56:57], v[42:43], v[30:31]
	s_wait_loadcnt_dscnt 0x202
	v_mul_f64_e32 v[58:59], v[46:47], v[26:27]
	;; [unrolled: 2-line block ×3, first 2 shown]
	v_mul_f64_e32 v[63:64], v[40:41], v[30:31]
	s_wait_loadcnt_dscnt 0x0
	v_mul_f64_e32 v[65:66], v[54:55], v[18:19]
	v_mul_f64_e32 v[67:68], v[44:45], v[26:27]
	;; [unrolled: 1-line block ×4, first 2 shown]
	v_fma_f64 v[56:57], v[40:41], v[28:29], -v[56:57]
	v_fma_f64 v[44:45], v[44:45], v[24:25], -v[58:59]
	;; [unrolled: 1-line block ×3, first 2 shown]
	v_fma_f64 v[58:59], v[42:43], v[28:29], v[63:64]
	v_fma_f64 v[52:53], v[52:53], v[16:17], -v[65:66]
	v_fma_f64 v[46:47], v[46:47], v[24:25], v[67:68]
	v_fma_f64 v[50:51], v[50:51], v[20:21], v[69:70]
	;; [unrolled: 1-line block ×3, first 2 shown]
	ds_load_b128 v[40:43], v84
	s_wait_dscnt 0x0
	v_add_f64_e32 v[69:70], v[40:41], v[56:57]
	v_add_f64_e32 v[61:62], v[44:45], v[48:49]
	;; [unrolled: 1-line block ×4, first 2 shown]
	v_add_f64_e64 v[77:78], v[56:57], -v[52:53]
	v_add_f64_e32 v[65:66], v[46:47], v[50:51]
	v_add_f64_e32 v[67:68], v[58:59], v[54:55]
	v_add_f64_e64 v[71:72], v[58:59], -v[54:55]
	v_add_f64_e64 v[73:74], v[46:47], -v[50:51]
	;; [unrolled: 1-line block ×8, first 2 shown]
	v_fma_f64 v[61:62], v[61:62], -0.5, v[40:41]
	v_add_f64_e32 v[46:47], v[75:76], v[46:47]
	v_fma_f64 v[40:41], v[63:64], -0.5, v[40:41]
	v_add_f64_e64 v[63:64], v[44:45], -v[48:49]
	v_fma_f64 v[65:66], v[65:66], -0.5, v[42:43]
	v_fma_f64 v[42:43], v[67:68], -0.5, v[42:43]
	v_add_f64_e64 v[67:68], v[56:57], -v[44:45]
	v_add_f64_e64 v[56:57], v[44:45], -v[56:57]
	v_add_f64_e32 v[44:45], v[69:70], v[44:45]
	v_add_f64_e32 v[58:59], v[58:59], v[96:97]
	v_fma_f64 v[69:70], v[71:72], s[2:3], v[61:62]
	s_wait_alu 0xfffe
	v_fma_f64 v[61:62], v[71:72], s[8:9], v[61:62]
	v_fma_f64 v[75:76], v[73:74], s[8:9], v[40:41]
	;; [unrolled: 1-line block ×7, first 2 shown]
	s_mov_b32 s2, 0x4755a5e
	s_mov_b32 s3, 0x3fe2cf23
	;; [unrolled: 1-line block ×3, first 2 shown]
	s_wait_alu 0xfffe
	s_mov_b32 s8, s2
	v_add_f64_e32 v[67:68], v[67:68], v[79:80]
	v_add_f64_e32 v[79:80], v[56:57], v[90:91]
	;; [unrolled: 1-line block ×5, first 2 shown]
	v_fma_f64 v[48:49], v[73:74], s[2:3], v[69:70]
	s_wait_alu 0xfffe
	v_fma_f64 v[50:51], v[73:74], s[8:9], v[61:62]
	v_fma_f64 v[61:62], v[71:72], s[2:3], v[75:76]
	;; [unrolled: 1-line block ×7, first 2 shown]
	s_mov_b32 s2, 0x372fe950
	s_mov_b32 s3, 0x3fd3c6ef
	v_add_f64_e32 v[40:41], v[44:45], v[52:53]
	v_add_f64_e32 v[42:43], v[46:47], v[54:55]
	s_wait_alu 0xfffe
	v_fma_f64 v[44:45], v[67:68], s[2:3], v[48:49]
	v_fma_f64 v[56:57], v[67:68], s[2:3], v[50:51]
	;; [unrolled: 1-line block ×8, first 2 shown]
	ds_store_b128 v85, v[40:43]
	ds_store_b128 v85, v[44:47] offset:336
	ds_store_b128 v85, v[48:51] offset:672
	;; [unrolled: 1-line block ×4, first 2 shown]
	global_wb scope:SCOPE_SE
	s_wait_dscnt 0x0
	s_barrier_signal -1
	s_barrier_wait -1
	global_inv scope:SCOPE_SE
	s_and_saveexec_b32 s1, vcc_lo
	s_cbranch_execz .LBB0_13
; %bb.12:
	s_add_nc_u64 s[2:3], s[14:15], 0x690
	s_clause 0x6
	global_load_b128 v[61:64], v82, s[14:15] offset:1680
	global_load_b128 v[65:68], v82, s[2:3] offset:240
	;; [unrolled: 1-line block ×7, first 2 shown]
	ds_load_b128 v[98:101], v85
	ds_load_b128 v[102:105], v85 offset:240
	ds_load_b128 v[106:109], v85 offset:480
	;; [unrolled: 1-line block ×6, first 2 shown]
	s_wait_loadcnt_dscnt 0x606
	v_mul_f64_e32 v[126:127], v[100:101], v[63:64]
	v_mul_f64_e32 v[63:64], v[98:99], v[63:64]
	s_wait_loadcnt_dscnt 0x505
	v_mul_f64_e32 v[128:129], v[104:105], v[67:68]
	v_mul_f64_e32 v[67:68], v[102:103], v[67:68]
	;; [unrolled: 3-line block ×7, first 2 shown]
	v_fma_f64 v[96:97], v[98:99], v[61:62], -v[126:127]
	v_fma_f64 v[98:99], v[100:101], v[61:62], v[63:64]
	v_fma_f64 v[61:62], v[102:103], v[65:66], -v[128:129]
	v_fma_f64 v[63:64], v[104:105], v[65:66], v[67:68]
	;; [unrolled: 2-line block ×7, first 2 shown]
	ds_store_b128 v85, v[96:99]
	ds_store_b128 v85, v[61:64] offset:240
	ds_store_b128 v85, v[65:68] offset:480
	;; [unrolled: 1-line block ×6, first 2 shown]
.LBB0_13:
	s_wait_alu 0xfffe
	s_or_b32 exec_lo, exec_lo, s1
	global_wb scope:SCOPE_SE
	s_wait_dscnt 0x0
	s_barrier_signal -1
	s_barrier_wait -1
	global_inv scope:SCOPE_SE
	s_and_saveexec_b32 s1, vcc_lo
	s_cbranch_execz .LBB0_15
; %bb.14:
	ds_load_b128 v[40:43], v85
	ds_load_b128 v[44:47], v85 offset:240
	ds_load_b128 v[48:51], v85 offset:480
	;; [unrolled: 1-line block ×6, first 2 shown]
.LBB0_15:
	s_wait_alu 0xfffe
	s_or_b32 exec_lo, exec_lo, s1
	s_wait_dscnt 0x0
	v_add_f64_e32 v[61:62], v[44:45], v[32:33]
	v_add_f64_e32 v[63:64], v[46:47], v[34:35]
	;; [unrolled: 1-line block ×4, first 2 shown]
	v_add_f64_e64 v[36:37], v[48:49], -v[36:37]
	v_add_f64_e32 v[48:49], v[52:53], v[56:57]
	v_add_f64_e32 v[69:70], v[54:55], v[58:59]
	v_add_f64_e64 v[38:39], v[50:51], -v[38:39]
	v_add_f64_e64 v[50:51], v[56:57], -v[52:53]
	;; [unrolled: 1-line block ×5, first 2 shown]
	s_mov_b32 s8, 0x36b3c0b5
	s_mov_b32 s9, 0x3fac98ee
	;; [unrolled: 1-line block ×8, first 2 shown]
	global_wb scope:SCOPE_SE
	s_barrier_signal -1
	s_barrier_wait -1
	global_inv scope:SCOPE_SE
	v_add_f64_e32 v[52:53], v[65:66], v[61:62]
	v_add_f64_e32 v[56:57], v[67:68], v[63:64]
	v_add_f64_e64 v[92:93], v[65:66], -v[61:62]
	v_add_f64_e64 v[44:45], v[48:49], -v[65:66]
	;; [unrolled: 1-line block ×9, first 2 shown]
	v_add_f64_e32 v[36:37], v[50:51], v[36:37]
	v_add_f64_e32 v[38:39], v[54:55], v[38:39]
	v_add_f64_e64 v[61:62], v[34:35], -v[54:55]
	v_add_f64_e32 v[73:74], v[48:49], v[52:53]
	v_add_f64_e32 v[75:76], v[69:70], v[56:57]
	v_add_f64_e64 v[69:70], v[63:64], -v[69:70]
	s_wait_alu 0xfffe
	v_mul_f64_e32 v[48:49], s[8:9], v[44:45]
	v_mul_f64_e32 v[52:53], s[8:9], v[46:47]
	v_add_f64_e64 v[56:57], v[32:33], -v[50:51]
	v_mul_f64_e32 v[54:55], s[10:11], v[58:59]
	v_mul_f64_e32 v[50:51], s[10:11], v[71:72]
	;; [unrolled: 1-line block ×3, first 2 shown]
	s_mov_b32 s11, 0x3fe77f67
	s_mov_b32 s10, 0x5476071b
	;; [unrolled: 1-line block ×4, first 2 shown]
	v_add_f64_e32 v[71:72], v[38:39], v[34:35]
	v_add_f64_e32 v[44:45], v[40:41], v[73:74]
	;; [unrolled: 1-line block ×3, first 2 shown]
	v_mul_f64_e32 v[40:41], s[16:17], v[77:78]
	v_mul_f64_e32 v[42:43], s[16:17], v[79:80]
	;; [unrolled: 1-line block ×3, first 2 shown]
	s_mov_b32 s2, 0xb247c609
	s_mov_b32 s3, 0x3fd5d0dc
	v_add_f64_e32 v[69:70], v[36:37], v[32:33]
	s_wait_alu 0xfffe
	v_fma_f64 v[32:33], v[92:93], s[10:11], -v[48:49]
	v_fma_f64 v[34:35], v[94:95], s[10:11], -v[52:53]
	s_mov_b32 s11, 0xbfe77f67
	v_fma_f64 v[36:37], v[77:78], s[16:17], -v[54:55]
	v_fma_f64 v[38:39], v[79:80], s[16:17], -v[50:51]
	v_fma_f64 v[65:66], v[73:74], s[8:9], v[44:45]
	v_fma_f64 v[67:68], v[75:76], s[8:9], v[46:47]
	v_fma_f64 v[40:41], v[56:57], s[2:3], -v[40:41]
	v_fma_f64 v[42:43], v[61:62], s[2:3], -v[42:43]
	s_wait_alu 0xfffe
	v_fma_f64 v[75:76], v[92:93], s[10:11], -v[58:59]
	v_fma_f64 v[79:80], v[94:95], s[10:11], -v[63:64]
	s_mov_b32 s8, 0x37c3f68c
	s_mov_b32 s9, 0xbfdc38aa
	s_wait_alu 0xfffe
	v_fma_f64 v[90:91], v[69:70], s[8:9], v[36:37]
	v_fma_f64 v[36:37], v[71:72], s[8:9], v[38:39]
	v_add_f64_e32 v[38:39], v[32:33], v[65:66]
	v_add_f64_e32 v[92:93], v[34:35], v[67:68]
	v_fma_f64 v[77:78], v[69:70], s[8:9], v[40:41]
	v_fma_f64 v[73:74], v[71:72], s[8:9], v[42:43]
	v_add_f64_e32 v[75:76], v[75:76], v[65:66]
	v_add_f64_e32 v[79:80], v[79:80], v[67:68]
	v_add_f64_e64 v[32:33], v[38:39], -v[36:37]
	v_add_f64_e32 v[34:35], v[90:91], v[92:93]
	v_add_f64_e32 v[36:37], v[38:39], v[36:37]
	v_add_f64_e64 v[38:39], v[92:93], -v[90:91]
	v_add_f64_e64 v[40:41], v[75:76], -v[73:74]
	v_add_f64_e32 v[42:43], v[77:78], v[79:80]
	s_and_saveexec_b32 s1, vcc_lo
	s_cbranch_execz .LBB0_17
; %bb.16:
	s_mov_b32 s3, 0xbfd5d0dc
	v_mul_f64_e32 v[69:70], s[8:9], v[69:70]
	s_wait_alu 0xfffe
	v_mul_f64_e32 v[56:57], s[2:3], v[56:57]
	v_mul_f64_e32 v[61:62], s[2:3], v[61:62]
	;; [unrolled: 1-line block ×3, first 2 shown]
	v_add_f64_e32 v[52:53], v[52:53], v[63:64]
	v_add_f64_e32 v[48:49], v[48:49], v[58:59]
	;; [unrolled: 1-line block ×4, first 2 shown]
	s_delay_alu instid0(VALU_DEP_4) | instskip(NEXT) | instid1(VALU_DEP_4)
	v_add_f64_e32 v[52:53], v[52:53], v[67:68]
	v_add_f64_e32 v[61:62], v[48:49], v[65:66]
	;; [unrolled: 1-line block ×5, first 2 shown]
	v_add_f64_e64 v[50:51], v[79:80], -v[77:78]
	s_delay_alu instid0(VALU_DEP_3) | instskip(SKIP_1) | instid1(VALU_DEP_4)
	v_add_f64_e32 v[54:55], v[56:57], v[52:53]
	v_add_f64_e64 v[58:59], v[52:53], -v[56:57]
	v_add_f64_e32 v[56:57], v[61:62], v[63:64]
	v_add_f64_e64 v[52:53], v[61:62], -v[63:64]
	v_and_b32_e32 v61, 0xffff, v87
	s_delay_alu instid0(VALU_DEP_1)
	v_lshl_add_u32 v61, v61, 4, v83
	ds_store_b128 v61, v[36:39] offset:64
	ds_store_b128 v61, v[40:43] offset:80
	;; [unrolled: 1-line block ×4, first 2 shown]
	ds_store_b128 v61, v[44:47]
	ds_store_b128 v61, v[56:59] offset:16
	ds_store_b128 v61, v[52:55] offset:96
.LBB0_17:
	s_wait_alu 0xfffe
	s_or_b32 exec_lo, exec_lo, s1
	global_wb scope:SCOPE_SE
	s_wait_dscnt 0x0
	s_barrier_signal -1
	s_barrier_wait -1
	global_inv scope:SCOPE_SE
	ds_load_b128 v[44:47], v84
	ds_load_b128 v[48:51], v84 offset:560
	ds_load_b128 v[52:55], v84 offset:1120
	s_and_saveexec_b32 s1, s0
	s_cbranch_execz .LBB0_19
; %bb.18:
	ds_load_b128 v[32:35], v84 offset:336
	ds_load_b128 v[36:39], v84 offset:896
	;; [unrolled: 1-line block ×3, first 2 shown]
.LBB0_19:
	s_wait_alu 0xfffe
	s_or_b32 exec_lo, exec_lo, s1
	s_wait_dscnt 0x1
	v_mul_f64_e32 v[56:57], v[14:15], v[50:51]
	s_wait_dscnt 0x0
	v_mul_f64_e32 v[58:59], v[10:11], v[54:55]
	v_mul_f64_e32 v[14:15], v[14:15], v[48:49]
	;; [unrolled: 1-line block ×3, first 2 shown]
	s_mov_b32 s2, 0xe8584caa
	s_mov_b32 s3, 0xbfebb67a
	;; [unrolled: 1-line block ×3, first 2 shown]
	s_wait_alu 0xfffe
	s_mov_b32 s8, s2
	global_wb scope:SCOPE_SE
	s_barrier_signal -1
	s_barrier_wait -1
	global_inv scope:SCOPE_SE
	v_fma_f64 v[48:49], v[12:13], v[48:49], v[56:57]
	v_fma_f64 v[52:53], v[8:9], v[52:53], v[58:59]
	v_fma_f64 v[12:13], v[12:13], v[50:51], -v[14:15]
	v_fma_f64 v[10:11], v[8:9], v[54:55], -v[10:11]
	s_delay_alu instid0(VALU_DEP_4) | instskip(NEXT) | instid1(VALU_DEP_4)
	v_add_f64_e32 v[50:51], v[44:45], v[48:49]
	v_add_f64_e32 v[8:9], v[48:49], v[52:53]
	v_add_f64_e64 v[48:49], v[48:49], -v[52:53]
	s_delay_alu instid0(VALU_DEP_4)
	v_add_f64_e32 v[14:15], v[12:13], v[10:11]
	v_add_f64_e64 v[54:55], v[12:13], -v[10:11]
	v_add_f64_e32 v[12:13], v[46:47], v[12:13]
	v_fma_f64 v[44:45], v[8:9], -0.5, v[44:45]
	v_add_f64_e32 v[8:9], v[50:51], v[52:53]
	v_fma_f64 v[46:47], v[14:15], -0.5, v[46:47]
	s_delay_alu instid0(VALU_DEP_4) | instskip(NEXT) | instid1(VALU_DEP_4)
	v_add_f64_e32 v[10:11], v[12:13], v[10:11]
	v_fma_f64 v[12:13], v[54:55], s[2:3], v[44:45]
	s_wait_alu 0xfffe
	v_fma_f64 v[44:45], v[54:55], s[8:9], v[44:45]
	s_delay_alu instid0(VALU_DEP_4)
	v_fma_f64 v[14:15], v[48:49], s[8:9], v[46:47]
	v_fma_f64 v[46:47], v[48:49], s[2:3], v[46:47]
	ds_store_b128 v89, v[8:11]
	ds_store_b128 v89, v[12:15] offset:112
	ds_store_b128 v89, v[44:47] offset:224
	s_and_saveexec_b32 s1, s0
	s_cbranch_execz .LBB0_21
; %bb.20:
	v_mul_f64_e32 v[8:9], v[6:7], v[36:37]
	v_mul_f64_e32 v[10:11], v[2:3], v[40:41]
	;; [unrolled: 1-line block ×4, first 2 shown]
	s_delay_alu instid0(VALU_DEP_4) | instskip(NEXT) | instid1(VALU_DEP_4)
	v_fma_f64 v[8:9], v[4:5], v[38:39], -v[8:9]
	v_fma_f64 v[10:11], v[0:1], v[42:43], -v[10:11]
	s_delay_alu instid0(VALU_DEP_4) | instskip(NEXT) | instid1(VALU_DEP_4)
	v_fma_f64 v[4:5], v[4:5], v[36:37], v[6:7]
	v_fma_f64 v[0:1], v[0:1], v[40:41], v[2:3]
	s_delay_alu instid0(VALU_DEP_4) | instskip(NEXT) | instid1(VALU_DEP_4)
	v_add_f64_e32 v[14:15], v[34:35], v[8:9]
	v_add_f64_e32 v[2:3], v[8:9], v[10:11]
	v_add_f64_e64 v[36:37], v[8:9], -v[10:11]
	s_delay_alu instid0(VALU_DEP_4)
	v_add_f64_e32 v[6:7], v[4:5], v[0:1]
	v_add_f64_e64 v[12:13], v[4:5], -v[0:1]
	v_add_f64_e32 v[4:5], v[32:33], v[4:5]
	v_fma_f64 v[34:35], v[2:3], -0.5, v[34:35]
	v_add_f64_e32 v[2:3], v[14:15], v[10:11]
	v_fma_f64 v[32:33], v[6:7], -0.5, v[32:33]
	s_delay_alu instid0(VALU_DEP_4) | instskip(NEXT) | instid1(VALU_DEP_4)
	v_add_f64_e32 v[0:1], v[4:5], v[0:1]
	v_fma_f64 v[10:11], v[12:13], s[8:9], v[34:35]
	v_fma_f64 v[6:7], v[12:13], s[2:3], v[34:35]
	s_delay_alu instid0(VALU_DEP_4) | instskip(SKIP_2) | instid1(VALU_DEP_1)
	v_fma_f64 v[8:9], v[36:37], s[2:3], v[32:33]
	v_fma_f64 v[4:5], v[36:37], s[8:9], v[32:33]
	v_mul_u32_u24_e32 v12, 21, v88
	v_add_nc_u32_e32 v12, v12, v86
	s_delay_alu instid0(VALU_DEP_1)
	v_lshl_add_u32 v12, v12, 4, v83
	ds_store_b128 v12, v[0:3]
	ds_store_b128 v12, v[8:11] offset:112
	ds_store_b128 v12, v[4:7] offset:224
.LBB0_21:
	s_wait_alu 0xfffe
	s_or_b32 exec_lo, exec_lo, s1
	global_wb scope:SCOPE_SE
	s_wait_dscnt 0x0
	s_barrier_signal -1
	s_barrier_wait -1
	global_inv scope:SCOPE_SE
	ds_load_b128 v[0:3], v84 offset:336
	ds_load_b128 v[4:7], v84 offset:672
	;; [unrolled: 1-line block ×4, first 2 shown]
	s_mov_b32 s0, 0x134454ff
	s_mov_b32 s1, 0xbfee6f0e
	;; [unrolled: 1-line block ×3, first 2 shown]
	s_wait_alu 0xfffe
	s_mov_b32 s2, s0
	s_wait_dscnt 0x3
	v_mul_f64_e32 v[32:33], v[30:31], v[2:3]
	s_wait_dscnt 0x2
	v_mul_f64_e32 v[34:35], v[26:27], v[6:7]
	;; [unrolled: 2-line block ×4, first 2 shown]
	v_mul_f64_e32 v[26:27], v[26:27], v[4:5]
	v_mul_f64_e32 v[22:23], v[22:23], v[8:9]
	v_mul_f64_e32 v[30:31], v[30:31], v[0:1]
	v_mul_f64_e32 v[18:19], v[18:19], v[12:13]
	v_fma_f64 v[32:33], v[28:29], v[0:1], v[32:33]
	v_fma_f64 v[4:5], v[24:25], v[4:5], v[34:35]
	;; [unrolled: 1-line block ×4, first 2 shown]
	v_fma_f64 v[6:7], v[24:25], v[6:7], -v[26:27]
	v_fma_f64 v[10:11], v[20:21], v[10:11], -v[22:23]
	v_fma_f64 v[28:29], v[28:29], v[2:3], -v[30:31]
	v_fma_f64 v[14:15], v[16:17], v[14:15], -v[18:19]
	ds_load_b128 v[0:3], v84
	s_wait_dscnt 0x0
	v_add_f64_e32 v[24:25], v[0:1], v[32:33]
	v_add_f64_e32 v[16:17], v[4:5], v[8:9]
	;; [unrolled: 1-line block ×3, first 2 shown]
	v_add_f64_e64 v[36:37], v[32:33], -v[12:13]
	v_add_f64_e32 v[20:21], v[6:7], v[10:11]
	v_add_f64_e32 v[34:35], v[2:3], v[28:29]
	;; [unrolled: 1-line block ×3, first 2 shown]
	v_add_f64_e64 v[26:27], v[28:29], -v[14:15]
	v_add_f64_e64 v[30:31], v[6:7], -v[10:11]
	;; [unrolled: 1-line block ×8, first 2 shown]
	v_fma_f64 v[16:17], v[16:17], -0.5, v[0:1]
	v_fma_f64 v[0:1], v[18:19], -0.5, v[0:1]
	v_add_f64_e64 v[18:19], v[4:5], -v[8:9]
	v_fma_f64 v[20:21], v[20:21], -0.5, v[2:3]
	v_add_f64_e32 v[6:7], v[34:35], v[6:7]
	v_fma_f64 v[2:3], v[22:23], -0.5, v[2:3]
	v_add_f64_e64 v[22:23], v[32:33], -v[4:5]
	v_add_f64_e64 v[32:33], v[4:5], -v[32:33]
	v_add_f64_e32 v[4:5], v[24:25], v[4:5]
	v_add_f64_e32 v[28:29], v[28:29], v[46:47]
	v_fma_f64 v[24:25], v[26:27], s[0:1], v[16:17]
	s_wait_alu 0xfffe
	v_fma_f64 v[16:17], v[26:27], s[2:3], v[16:17]
	v_fma_f64 v[34:35], v[30:31], s[2:3], v[0:1]
	v_fma_f64 v[0:1], v[30:31], s[0:1], v[0:1]
	v_fma_f64 v[48:49], v[36:37], s[2:3], v[20:21]
	v_fma_f64 v[50:51], v[18:19], s[0:1], v[2:3]
	v_fma_f64 v[2:3], v[18:19], s[2:3], v[2:3]
	v_fma_f64 v[20:21], v[36:37], s[0:1], v[20:21]
	s_mov_b32 s0, 0x4755a5e
	s_mov_b32 s1, 0xbfe2cf23
	;; [unrolled: 1-line block ×3, first 2 shown]
	s_wait_alu 0xfffe
	s_mov_b32 s2, s0
	v_add_f64_e32 v[4:5], v[4:5], v[8:9]
	v_add_f64_e32 v[6:7], v[6:7], v[10:11]
	;; [unrolled: 1-line block ×5, first 2 shown]
	v_fma_f64 v[8:9], v[30:31], s[0:1], v[24:25]
	s_wait_alu 0xfffe
	v_fma_f64 v[10:11], v[30:31], s[2:3], v[16:17]
	v_fma_f64 v[16:17], v[26:27], s[0:1], v[34:35]
	;; [unrolled: 1-line block ×7, first 2 shown]
	s_mov_b32 s0, 0x372fe950
	s_mov_b32 s1, 0x3fd3c6ef
	v_add_f64_e32 v[0:1], v[4:5], v[12:13]
	v_add_f64_e32 v[2:3], v[6:7], v[14:15]
	s_wait_alu 0xfffe
	v_fma_f64 v[4:5], v[22:23], s[0:1], v[8:9]
	v_fma_f64 v[8:9], v[22:23], s[0:1], v[10:11]
	;; [unrolled: 1-line block ×8, first 2 shown]
	ds_store_b128 v85, v[0:3]
	ds_store_b128 v85, v[4:7] offset:336
	ds_store_b128 v85, v[12:15] offset:672
	;; [unrolled: 1-line block ×4, first 2 shown]
	global_wb scope:SCOPE_SE
	s_wait_dscnt 0x0
	s_barrier_signal -1
	s_barrier_wait -1
	global_inv scope:SCOPE_SE
	s_and_b32 exec_lo, exec_lo, vcc_lo
	s_cbranch_execz .LBB0_23
; %bb.22:
	s_clause 0x6
	global_load_b128 v[0:3], v82, s[14:15]
	global_load_b128 v[4:7], v82, s[14:15] offset:240
	global_load_b128 v[8:11], v82, s[14:15] offset:480
	;; [unrolled: 1-line block ×6, first 2 shown]
	ds_load_b128 v[28:31], v85
	ds_load_b128 v[32:35], v85 offset:240
	ds_load_b128 v[36:39], v85 offset:480
	;; [unrolled: 1-line block ×6, first 2 shown]
	v_mad_co_u64_u32 v[71:72], null, s6, v60, 0
	v_mad_co_u64_u32 v[73:74], null, s4, v81, 0
	s_mov_b32 s0, 0x13813814
	s_mov_b32 s1, 0x3f838138
	s_wait_loadcnt_dscnt 0x606
	v_mul_f64_e32 v[56:57], v[30:31], v[2:3]
	v_mul_f64_e32 v[2:3], v[28:29], v[2:3]
	s_wait_loadcnt_dscnt 0x505
	v_mul_f64_e32 v[58:59], v[34:35], v[6:7]
	v_mul_f64_e32 v[6:7], v[32:33], v[6:7]
	s_wait_loadcnt_dscnt 0x404
	v_mul_f64_e32 v[61:62], v[38:39], v[10:11]
	v_mul_f64_e32 v[10:11], v[36:37], v[10:11]
	s_wait_loadcnt_dscnt 0x303
	v_mul_f64_e32 v[63:64], v[42:43], v[14:15]
	v_mul_f64_e32 v[14:15], v[40:41], v[14:15]
	s_wait_loadcnt_dscnt 0x202
	v_mul_f64_e32 v[65:66], v[46:47], v[18:19]
	v_mul_f64_e32 v[18:19], v[44:45], v[18:19]
	s_wait_loadcnt_dscnt 0x101
	v_mul_f64_e32 v[67:68], v[50:51], v[22:23]
	v_mul_f64_e32 v[22:23], v[48:49], v[22:23]
	s_wait_loadcnt_dscnt 0x0
	v_mul_f64_e32 v[69:70], v[54:55], v[26:27]
	v_mul_f64_e32 v[26:27], v[52:53], v[26:27]
	v_fma_f64 v[28:29], v[28:29], v[0:1], v[56:57]
	v_fma_f64 v[2:3], v[0:1], v[30:31], -v[2:3]
	v_fma_f64 v[30:31], v[32:33], v[4:5], v[58:59]
	v_fma_f64 v[6:7], v[4:5], v[34:35], -v[6:7]
	v_fma_f64 v[32:33], v[36:37], v[8:9], v[61:62]
	v_fma_f64 v[10:11], v[8:9], v[38:39], -v[10:11]
	v_fma_f64 v[34:35], v[40:41], v[12:13], v[63:64]
	v_fma_f64 v[14:15], v[12:13], v[42:43], -v[14:15]
	v_fma_f64 v[36:37], v[44:45], v[16:17], v[65:66]
	v_fma_f64 v[18:19], v[16:17], v[46:47], -v[18:19]
	v_fma_f64 v[38:39], v[48:49], v[20:21], v[67:68]
	v_fma_f64 v[22:23], v[20:21], v[50:51], -v[22:23]
	v_fma_f64 v[40:41], v[52:53], v[24:25], v[69:70]
	v_fma_f64 v[26:27], v[24:25], v[54:55], -v[26:27]
	v_mov_b32_e32 v0, v74
	v_mad_co_u64_u32 v[4:5], null, s7, v60, v[72:73]
	s_delay_alu instid0(VALU_DEP_2) | instskip(NEXT) | instid1(VALU_DEP_2)
	v_mad_co_u64_u32 v[0:1], null, s5, v81, v[0:1]
	v_mov_b32_e32 v72, v4
	s_delay_alu instid0(VALU_DEP_2) | instskip(NEXT) | instid1(VALU_DEP_2)
	v_mov_b32_e32 v74, v0
	v_lshlrev_b64_e32 v[0:1], 4, v[71:72]
	s_delay_alu instid0(VALU_DEP_2) | instskip(NEXT) | instid1(VALU_DEP_2)
	v_lshlrev_b64_e32 v[42:43], 4, v[73:74]
	v_add_co_u32 v44, vcc_lo, s12, v0
	s_delay_alu instid0(VALU_DEP_3)
	v_add_co_ci_u32_e32 v45, vcc_lo, s13, v1, vcc_lo
	s_wait_alu 0xfffe
	v_mul_f64_e32 v[0:1], s[0:1], v[28:29]
	v_mul_f64_e32 v[2:3], s[0:1], v[2:3]
	;; [unrolled: 1-line block ×14, first 2 shown]
	v_add_co_u32 v28, vcc_lo, v44, v42
	s_wait_alu 0xfffd
	v_add_co_ci_u32_e32 v29, vcc_lo, v45, v43, vcc_lo
	s_mul_u64 s[0:1], s[4:5], 0xf0
	s_wait_alu 0xfffe
	v_add_co_u32 v30, vcc_lo, v28, s0
	s_wait_alu 0xfffd
	v_add_co_ci_u32_e32 v31, vcc_lo, s1, v29, vcc_lo
	s_delay_alu instid0(VALU_DEP_2) | instskip(SKIP_1) | instid1(VALU_DEP_2)
	v_add_co_u32 v32, vcc_lo, v30, s0
	s_wait_alu 0xfffd
	v_add_co_ci_u32_e32 v33, vcc_lo, s1, v31, vcc_lo
	s_delay_alu instid0(VALU_DEP_2) | instskip(SKIP_1) | instid1(VALU_DEP_2)
	;; [unrolled: 4-line block ×5, first 2 shown]
	v_add_co_u32 v40, vcc_lo, v38, s0
	s_wait_alu 0xfffd
	v_add_co_ci_u32_e32 v41, vcc_lo, s1, v39, vcc_lo
	s_clause 0x4
	global_store_b128 v[28:29], v[0:3], off
	global_store_b128 v[30:31], v[4:7], off
	;; [unrolled: 1-line block ×7, first 2 shown]
.LBB0_23:
	s_nop 0
	s_sendmsg sendmsg(MSG_DEALLOC_VGPRS)
	s_endpgm
	.section	.rodata,"a",@progbits
	.p2align	6, 0x0
	.amdhsa_kernel bluestein_single_back_len105_dim1_dp_op_CI_CI
		.amdhsa_group_segment_fixed_size 20160
		.amdhsa_private_segment_fixed_size 0
		.amdhsa_kernarg_size 104
		.amdhsa_user_sgpr_count 2
		.amdhsa_user_sgpr_dispatch_ptr 0
		.amdhsa_user_sgpr_queue_ptr 0
		.amdhsa_user_sgpr_kernarg_segment_ptr 1
		.amdhsa_user_sgpr_dispatch_id 0
		.amdhsa_user_sgpr_private_segment_size 0
		.amdhsa_wavefront_size32 1
		.amdhsa_uses_dynamic_stack 0
		.amdhsa_enable_private_segment 0
		.amdhsa_system_sgpr_workgroup_id_x 1
		.amdhsa_system_sgpr_workgroup_id_y 0
		.amdhsa_system_sgpr_workgroup_id_z 0
		.amdhsa_system_sgpr_workgroup_info 0
		.amdhsa_system_vgpr_workitem_id 0
		.amdhsa_next_free_vgpr 142
		.amdhsa_next_free_sgpr 18
		.amdhsa_reserve_vcc 1
		.amdhsa_float_round_mode_32 0
		.amdhsa_float_round_mode_16_64 0
		.amdhsa_float_denorm_mode_32 3
		.amdhsa_float_denorm_mode_16_64 3
		.amdhsa_fp16_overflow 0
		.amdhsa_workgroup_processor_mode 1
		.amdhsa_memory_ordered 1
		.amdhsa_forward_progress 0
		.amdhsa_round_robin_scheduling 0
		.amdhsa_exception_fp_ieee_invalid_op 0
		.amdhsa_exception_fp_denorm_src 0
		.amdhsa_exception_fp_ieee_div_zero 0
		.amdhsa_exception_fp_ieee_overflow 0
		.amdhsa_exception_fp_ieee_underflow 0
		.amdhsa_exception_fp_ieee_inexact 0
		.amdhsa_exception_int_div_zero 0
	.end_amdhsa_kernel
	.text
.Lfunc_end0:
	.size	bluestein_single_back_len105_dim1_dp_op_CI_CI, .Lfunc_end0-bluestein_single_back_len105_dim1_dp_op_CI_CI
                                        ; -- End function
	.section	.AMDGPU.csdata,"",@progbits
; Kernel info:
; codeLenInByte = 6936
; NumSgprs: 20
; NumVgprs: 142
; ScratchSize: 0
; MemoryBound: 0
; FloatMode: 240
; IeeeMode: 1
; LDSByteSize: 20160 bytes/workgroup (compile time only)
; SGPRBlocks: 2
; VGPRBlocks: 17
; NumSGPRsForWavesPerEU: 20
; NumVGPRsForWavesPerEU: 142
; Occupancy: 10
; WaveLimiterHint : 1
; COMPUTE_PGM_RSRC2:SCRATCH_EN: 0
; COMPUTE_PGM_RSRC2:USER_SGPR: 2
; COMPUTE_PGM_RSRC2:TRAP_HANDLER: 0
; COMPUTE_PGM_RSRC2:TGID_X_EN: 1
; COMPUTE_PGM_RSRC2:TGID_Y_EN: 0
; COMPUTE_PGM_RSRC2:TGID_Z_EN: 0
; COMPUTE_PGM_RSRC2:TIDIG_COMP_CNT: 0
	.text
	.p2alignl 7, 3214868480
	.fill 96, 4, 3214868480
	.type	__hip_cuid_caf3ef8dc92f3f0c,@object ; @__hip_cuid_caf3ef8dc92f3f0c
	.section	.bss,"aw",@nobits
	.globl	__hip_cuid_caf3ef8dc92f3f0c
__hip_cuid_caf3ef8dc92f3f0c:
	.byte	0                               ; 0x0
	.size	__hip_cuid_caf3ef8dc92f3f0c, 1

	.ident	"AMD clang version 19.0.0git (https://github.com/RadeonOpenCompute/llvm-project roc-6.4.0 25133 c7fe45cf4b819c5991fe208aaa96edf142730f1d)"
	.section	".note.GNU-stack","",@progbits
	.addrsig
	.addrsig_sym __hip_cuid_caf3ef8dc92f3f0c
	.amdgpu_metadata
---
amdhsa.kernels:
  - .args:
      - .actual_access:  read_only
        .address_space:  global
        .offset:         0
        .size:           8
        .value_kind:     global_buffer
      - .actual_access:  read_only
        .address_space:  global
        .offset:         8
        .size:           8
        .value_kind:     global_buffer
      - .actual_access:  read_only
        .address_space:  global
        .offset:         16
        .size:           8
        .value_kind:     global_buffer
      - .actual_access:  read_only
        .address_space:  global
        .offset:         24
        .size:           8
        .value_kind:     global_buffer
      - .actual_access:  read_only
        .address_space:  global
        .offset:         32
        .size:           8
        .value_kind:     global_buffer
      - .offset:         40
        .size:           8
        .value_kind:     by_value
      - .address_space:  global
        .offset:         48
        .size:           8
        .value_kind:     global_buffer
      - .address_space:  global
        .offset:         56
        .size:           8
        .value_kind:     global_buffer
      - .address_space:  global
        .offset:         64
        .size:           8
        .value_kind:     global_buffer
      - .address_space:  global
        .offset:         72
        .size:           8
        .value_kind:     global_buffer
      - .offset:         80
        .size:           4
        .value_kind:     by_value
      - .address_space:  global
        .offset:         88
        .size:           8
        .value_kind:     global_buffer
      - .address_space:  global
        .offset:         96
        .size:           8
        .value_kind:     global_buffer
    .group_segment_fixed_size: 20160
    .kernarg_segment_align: 8
    .kernarg_segment_size: 104
    .language:       OpenCL C
    .language_version:
      - 2
      - 0
    .max_flat_workgroup_size: 252
    .name:           bluestein_single_back_len105_dim1_dp_op_CI_CI
    .private_segment_fixed_size: 0
    .sgpr_count:     20
    .sgpr_spill_count: 0
    .symbol:         bluestein_single_back_len105_dim1_dp_op_CI_CI.kd
    .uniform_work_group_size: 1
    .uses_dynamic_stack: false
    .vgpr_count:     142
    .vgpr_spill_count: 0
    .wavefront_size: 32
    .workgroup_processor_mode: 1
amdhsa.target:   amdgcn-amd-amdhsa--gfx1201
amdhsa.version:
  - 1
  - 2
...

	.end_amdgpu_metadata
